;; amdgpu-corpus repo=ROCm/rocFFT kind=compiled arch=gfx1100 opt=O3
	.text
	.amdgcn_target "amdgcn-amd-amdhsa--gfx1100"
	.amdhsa_code_object_version 6
	.protected	fft_rtc_back_len1470_factors_2_3_5_7_7_wgs_210_tpt_210_halfLds_half_ip_CI_unitstride_sbrr_dirReg ; -- Begin function fft_rtc_back_len1470_factors_2_3_5_7_7_wgs_210_tpt_210_halfLds_half_ip_CI_unitstride_sbrr_dirReg
	.globl	fft_rtc_back_len1470_factors_2_3_5_7_7_wgs_210_tpt_210_halfLds_half_ip_CI_unitstride_sbrr_dirReg
	.p2align	8
	.type	fft_rtc_back_len1470_factors_2_3_5_7_7_wgs_210_tpt_210_halfLds_half_ip_CI_unitstride_sbrr_dirReg,@function
fft_rtc_back_len1470_factors_2_3_5_7_7_wgs_210_tpt_210_halfLds_half_ip_CI_unitstride_sbrr_dirReg: ; @fft_rtc_back_len1470_factors_2_3_5_7_7_wgs_210_tpt_210_halfLds_half_ip_CI_unitstride_sbrr_dirReg
; %bb.0:
	s_clause 0x2
	s_load_b128 s[4:7], s[0:1], 0x0
	s_load_b64 s[8:9], s[0:1], 0x50
	s_load_b64 s[10:11], s[0:1], 0x18
	v_mul_u32_u24_e32 v1, 0x139, v0
	v_mov_b32_e32 v3, 0
	v_mov_b32_e32 v4, 0
	s_delay_alu instid0(VALU_DEP_3) | instskip(SKIP_1) | instid1(VALU_DEP_1)
	v_lshrrev_b32_e32 v2, 16, v1
	v_mov_b32_e32 v1, 0
	v_dual_mov_b32 v6, v1 :: v_dual_add_nc_u32 v5, s15, v2
	s_waitcnt lgkmcnt(0)
	v_cmp_lt_u64_e64 s2, s[6:7], 2
	s_delay_alu instid0(VALU_DEP_1)
	s_and_b32 vcc_lo, exec_lo, s2
	s_cbranch_vccnz .LBB0_8
; %bb.1:
	s_load_b64 s[2:3], s[0:1], 0x10
	v_mov_b32_e32 v3, 0
	s_add_u32 s12, s10, 8
	v_mov_b32_e32 v4, 0
	s_addc_u32 s13, s11, 0
	s_mov_b64 s[16:17], 1
	s_waitcnt lgkmcnt(0)
	s_add_u32 s14, s2, 8
	s_addc_u32 s15, s3, 0
.LBB0_2:                                ; =>This Inner Loop Header: Depth=1
	s_load_b64 s[18:19], s[14:15], 0x0
                                        ; implicit-def: $vgpr7_vgpr8
	s_mov_b32 s2, exec_lo
	s_waitcnt lgkmcnt(0)
	v_or_b32_e32 v2, s19, v6
	s_delay_alu instid0(VALU_DEP_1)
	v_cmpx_ne_u64_e32 0, v[1:2]
	s_xor_b32 s3, exec_lo, s2
	s_cbranch_execz .LBB0_4
; %bb.3:                                ;   in Loop: Header=BB0_2 Depth=1
	v_cvt_f32_u32_e32 v2, s18
	v_cvt_f32_u32_e32 v7, s19
	s_sub_u32 s2, 0, s18
	s_subb_u32 s20, 0, s19
	s_delay_alu instid0(VALU_DEP_1) | instskip(NEXT) | instid1(VALU_DEP_1)
	v_fmac_f32_e32 v2, 0x4f800000, v7
	v_rcp_f32_e32 v2, v2
	s_waitcnt_depctr 0xfff
	v_mul_f32_e32 v2, 0x5f7ffffc, v2
	s_delay_alu instid0(VALU_DEP_1) | instskip(NEXT) | instid1(VALU_DEP_1)
	v_mul_f32_e32 v7, 0x2f800000, v2
	v_trunc_f32_e32 v7, v7
	s_delay_alu instid0(VALU_DEP_1) | instskip(SKIP_1) | instid1(VALU_DEP_2)
	v_fmac_f32_e32 v2, 0xcf800000, v7
	v_cvt_u32_f32_e32 v7, v7
	v_cvt_u32_f32_e32 v2, v2
	s_delay_alu instid0(VALU_DEP_2) | instskip(NEXT) | instid1(VALU_DEP_2)
	v_mul_lo_u32 v8, s2, v7
	v_mul_hi_u32 v9, s2, v2
	v_mul_lo_u32 v10, s20, v2
	s_delay_alu instid0(VALU_DEP_2) | instskip(SKIP_1) | instid1(VALU_DEP_2)
	v_add_nc_u32_e32 v8, v9, v8
	v_mul_lo_u32 v9, s2, v2
	v_add_nc_u32_e32 v8, v8, v10
	s_delay_alu instid0(VALU_DEP_2) | instskip(NEXT) | instid1(VALU_DEP_2)
	v_mul_hi_u32 v10, v2, v9
	v_mul_lo_u32 v11, v2, v8
	v_mul_hi_u32 v12, v2, v8
	v_mul_hi_u32 v13, v7, v9
	v_mul_lo_u32 v9, v7, v9
	v_mul_hi_u32 v14, v7, v8
	v_mul_lo_u32 v8, v7, v8
	v_add_co_u32 v10, vcc_lo, v10, v11
	v_add_co_ci_u32_e32 v11, vcc_lo, 0, v12, vcc_lo
	s_delay_alu instid0(VALU_DEP_2) | instskip(NEXT) | instid1(VALU_DEP_2)
	v_add_co_u32 v9, vcc_lo, v10, v9
	v_add_co_ci_u32_e32 v9, vcc_lo, v11, v13, vcc_lo
	v_add_co_ci_u32_e32 v10, vcc_lo, 0, v14, vcc_lo
	s_delay_alu instid0(VALU_DEP_2) | instskip(NEXT) | instid1(VALU_DEP_2)
	v_add_co_u32 v8, vcc_lo, v9, v8
	v_add_co_ci_u32_e32 v9, vcc_lo, 0, v10, vcc_lo
	s_delay_alu instid0(VALU_DEP_2) | instskip(NEXT) | instid1(VALU_DEP_2)
	v_add_co_u32 v2, vcc_lo, v2, v8
	v_add_co_ci_u32_e32 v7, vcc_lo, v7, v9, vcc_lo
	s_delay_alu instid0(VALU_DEP_2) | instskip(SKIP_1) | instid1(VALU_DEP_3)
	v_mul_hi_u32 v8, s2, v2
	v_mul_lo_u32 v10, s20, v2
	v_mul_lo_u32 v9, s2, v7
	s_delay_alu instid0(VALU_DEP_1) | instskip(SKIP_1) | instid1(VALU_DEP_2)
	v_add_nc_u32_e32 v8, v8, v9
	v_mul_lo_u32 v9, s2, v2
	v_add_nc_u32_e32 v8, v8, v10
	s_delay_alu instid0(VALU_DEP_2) | instskip(NEXT) | instid1(VALU_DEP_2)
	v_mul_hi_u32 v10, v2, v9
	v_mul_lo_u32 v11, v2, v8
	v_mul_hi_u32 v12, v2, v8
	v_mul_hi_u32 v13, v7, v9
	v_mul_lo_u32 v9, v7, v9
	v_mul_hi_u32 v14, v7, v8
	v_mul_lo_u32 v8, v7, v8
	v_add_co_u32 v10, vcc_lo, v10, v11
	v_add_co_ci_u32_e32 v11, vcc_lo, 0, v12, vcc_lo
	s_delay_alu instid0(VALU_DEP_2) | instskip(NEXT) | instid1(VALU_DEP_2)
	v_add_co_u32 v9, vcc_lo, v10, v9
	v_add_co_ci_u32_e32 v9, vcc_lo, v11, v13, vcc_lo
	v_add_co_ci_u32_e32 v10, vcc_lo, 0, v14, vcc_lo
	s_delay_alu instid0(VALU_DEP_2) | instskip(NEXT) | instid1(VALU_DEP_2)
	v_add_co_u32 v8, vcc_lo, v9, v8
	v_add_co_ci_u32_e32 v9, vcc_lo, 0, v10, vcc_lo
	s_delay_alu instid0(VALU_DEP_2) | instskip(NEXT) | instid1(VALU_DEP_2)
	v_add_co_u32 v2, vcc_lo, v2, v8
	v_add_co_ci_u32_e32 v13, vcc_lo, v7, v9, vcc_lo
	s_delay_alu instid0(VALU_DEP_2) | instskip(SKIP_1) | instid1(VALU_DEP_3)
	v_mul_hi_u32 v14, v5, v2
	v_mad_u64_u32 v[9:10], null, v6, v2, 0
	v_mad_u64_u32 v[7:8], null, v5, v13, 0
	;; [unrolled: 1-line block ×3, first 2 shown]
	s_delay_alu instid0(VALU_DEP_2) | instskip(NEXT) | instid1(VALU_DEP_3)
	v_add_co_u32 v2, vcc_lo, v14, v7
	v_add_co_ci_u32_e32 v7, vcc_lo, 0, v8, vcc_lo
	s_delay_alu instid0(VALU_DEP_2) | instskip(NEXT) | instid1(VALU_DEP_2)
	v_add_co_u32 v2, vcc_lo, v2, v9
	v_add_co_ci_u32_e32 v2, vcc_lo, v7, v10, vcc_lo
	v_add_co_ci_u32_e32 v7, vcc_lo, 0, v12, vcc_lo
	s_delay_alu instid0(VALU_DEP_2) | instskip(NEXT) | instid1(VALU_DEP_2)
	v_add_co_u32 v2, vcc_lo, v2, v11
	v_add_co_ci_u32_e32 v9, vcc_lo, 0, v7, vcc_lo
	s_delay_alu instid0(VALU_DEP_2) | instskip(SKIP_1) | instid1(VALU_DEP_3)
	v_mul_lo_u32 v10, s19, v2
	v_mad_u64_u32 v[7:8], null, s18, v2, 0
	v_mul_lo_u32 v11, s18, v9
	s_delay_alu instid0(VALU_DEP_2) | instskip(NEXT) | instid1(VALU_DEP_2)
	v_sub_co_u32 v7, vcc_lo, v5, v7
	v_add3_u32 v8, v8, v11, v10
	s_delay_alu instid0(VALU_DEP_1) | instskip(NEXT) | instid1(VALU_DEP_1)
	v_sub_nc_u32_e32 v10, v6, v8
	v_subrev_co_ci_u32_e64 v10, s2, s19, v10, vcc_lo
	v_add_co_u32 v11, s2, v2, 2
	s_delay_alu instid0(VALU_DEP_1) | instskip(SKIP_3) | instid1(VALU_DEP_3)
	v_add_co_ci_u32_e64 v12, s2, 0, v9, s2
	v_sub_co_u32 v13, s2, v7, s18
	v_sub_co_ci_u32_e32 v8, vcc_lo, v6, v8, vcc_lo
	v_subrev_co_ci_u32_e64 v10, s2, 0, v10, s2
	v_cmp_le_u32_e32 vcc_lo, s18, v13
	s_delay_alu instid0(VALU_DEP_3) | instskip(SKIP_1) | instid1(VALU_DEP_4)
	v_cmp_eq_u32_e64 s2, s19, v8
	v_cndmask_b32_e64 v13, 0, -1, vcc_lo
	v_cmp_le_u32_e32 vcc_lo, s19, v10
	v_cndmask_b32_e64 v14, 0, -1, vcc_lo
	v_cmp_le_u32_e32 vcc_lo, s18, v7
	;; [unrolled: 2-line block ×3, first 2 shown]
	v_cndmask_b32_e64 v15, 0, -1, vcc_lo
	v_cmp_eq_u32_e32 vcc_lo, s19, v10
	s_delay_alu instid0(VALU_DEP_2) | instskip(SKIP_3) | instid1(VALU_DEP_3)
	v_cndmask_b32_e64 v7, v15, v7, s2
	v_cndmask_b32_e32 v10, v14, v13, vcc_lo
	v_add_co_u32 v13, vcc_lo, v2, 1
	v_add_co_ci_u32_e32 v14, vcc_lo, 0, v9, vcc_lo
	v_cmp_ne_u32_e32 vcc_lo, 0, v10
	s_delay_alu instid0(VALU_DEP_2) | instskip(NEXT) | instid1(VALU_DEP_4)
	v_cndmask_b32_e32 v8, v14, v12, vcc_lo
	v_cndmask_b32_e32 v10, v13, v11, vcc_lo
	v_cmp_ne_u32_e32 vcc_lo, 0, v7
	s_delay_alu instid0(VALU_DEP_2)
	v_dual_cndmask_b32 v7, v2, v10 :: v_dual_cndmask_b32 v8, v9, v8
.LBB0_4:                                ;   in Loop: Header=BB0_2 Depth=1
	s_and_not1_saveexec_b32 s2, s3
	s_cbranch_execz .LBB0_6
; %bb.5:                                ;   in Loop: Header=BB0_2 Depth=1
	v_cvt_f32_u32_e32 v2, s18
	s_sub_i32 s3, 0, s18
	s_delay_alu instid0(VALU_DEP_1) | instskip(SKIP_2) | instid1(VALU_DEP_1)
	v_rcp_iflag_f32_e32 v2, v2
	s_waitcnt_depctr 0xfff
	v_mul_f32_e32 v2, 0x4f7ffffe, v2
	v_cvt_u32_f32_e32 v2, v2
	s_delay_alu instid0(VALU_DEP_1) | instskip(NEXT) | instid1(VALU_DEP_1)
	v_mul_lo_u32 v7, s3, v2
	v_mul_hi_u32 v7, v2, v7
	s_delay_alu instid0(VALU_DEP_1) | instskip(NEXT) | instid1(VALU_DEP_1)
	v_add_nc_u32_e32 v2, v2, v7
	v_mul_hi_u32 v2, v5, v2
	s_delay_alu instid0(VALU_DEP_1) | instskip(SKIP_1) | instid1(VALU_DEP_2)
	v_mul_lo_u32 v7, v2, s18
	v_add_nc_u32_e32 v8, 1, v2
	v_sub_nc_u32_e32 v7, v5, v7
	s_delay_alu instid0(VALU_DEP_1) | instskip(SKIP_1) | instid1(VALU_DEP_2)
	v_subrev_nc_u32_e32 v9, s18, v7
	v_cmp_le_u32_e32 vcc_lo, s18, v7
	v_dual_cndmask_b32 v7, v7, v9 :: v_dual_cndmask_b32 v2, v2, v8
	s_delay_alu instid0(VALU_DEP_1) | instskip(NEXT) | instid1(VALU_DEP_2)
	v_cmp_le_u32_e32 vcc_lo, s18, v7
	v_add_nc_u32_e32 v8, 1, v2
	s_delay_alu instid0(VALU_DEP_1)
	v_dual_cndmask_b32 v7, v2, v8 :: v_dual_mov_b32 v8, v1
.LBB0_6:                                ;   in Loop: Header=BB0_2 Depth=1
	s_or_b32 exec_lo, exec_lo, s2
	s_load_b64 s[2:3], s[12:13], 0x0
	s_delay_alu instid0(VALU_DEP_1) | instskip(NEXT) | instid1(VALU_DEP_2)
	v_mul_lo_u32 v2, v8, s18
	v_mul_lo_u32 v11, v7, s19
	v_mad_u64_u32 v[9:10], null, v7, s18, 0
	s_add_u32 s16, s16, 1
	s_addc_u32 s17, s17, 0
	s_add_u32 s12, s12, 8
	s_addc_u32 s13, s13, 0
	;; [unrolled: 2-line block ×3, first 2 shown]
	s_delay_alu instid0(VALU_DEP_1) | instskip(SKIP_1) | instid1(VALU_DEP_2)
	v_add3_u32 v2, v10, v11, v2
	v_sub_co_u32 v9, vcc_lo, v5, v9
	v_sub_co_ci_u32_e32 v2, vcc_lo, v6, v2, vcc_lo
	s_waitcnt lgkmcnt(0)
	s_delay_alu instid0(VALU_DEP_2) | instskip(NEXT) | instid1(VALU_DEP_2)
	v_mul_lo_u32 v10, s3, v9
	v_mul_lo_u32 v2, s2, v2
	v_mad_u64_u32 v[5:6], null, s2, v9, v[3:4]
	v_cmp_ge_u64_e64 s2, s[16:17], s[6:7]
	s_delay_alu instid0(VALU_DEP_1) | instskip(NEXT) | instid1(VALU_DEP_2)
	s_and_b32 vcc_lo, exec_lo, s2
	v_add3_u32 v4, v10, v6, v2
	s_delay_alu instid0(VALU_DEP_3)
	v_mov_b32_e32 v3, v5
	s_cbranch_vccnz .LBB0_9
; %bb.7:                                ;   in Loop: Header=BB0_2 Depth=1
	v_dual_mov_b32 v5, v7 :: v_dual_mov_b32 v6, v8
	s_branch .LBB0_2
.LBB0_8:
	v_dual_mov_b32 v8, v6 :: v_dual_mov_b32 v7, v5
.LBB0_9:
	s_lshl_b64 s[2:3], s[6:7], 3
	v_mul_hi_u32 v1, 0x1381382, v0
	s_add_u32 s2, s10, s2
	s_addc_u32 s3, s11, s3
	v_mov_b32_e32 v10, 0
	s_load_b64 s[2:3], s[2:3], 0x0
	s_load_b64 s[0:1], s[0:1], 0x20
                                        ; implicit-def: $vgpr20
                                        ; implicit-def: $vgpr14
                                        ; implicit-def: $vgpr12
                                        ; implicit-def: $vgpr22
                                        ; implicit-def: $vgpr11
                                        ; implicit-def: $vgpr21
                                        ; implicit-def: $vgpr13
                                        ; implicit-def: $vgpr23
                                        ; implicit-def: $vgpr16
                                        ; implicit-def: $vgpr15
                                        ; implicit-def: $vgpr17
	s_delay_alu instid0(VALU_DEP_2)
	v_mul_u32_u24_e32 v1, 0xd2, v1
	s_waitcnt lgkmcnt(0)
	v_mul_lo_u32 v2, s2, v8
	v_mul_lo_u32 v9, s3, v7
	v_mad_u64_u32 v[5:6], null, s2, v7, v[3:4]
	v_cmp_gt_u64_e32 vcc_lo, s[0:1], v[7:8]
	v_sub_nc_u32_e32 v3, v0, v1
	v_mov_b32_e32 v4, 0
                                        ; implicit-def: $vgpr8
	s_delay_alu instid0(VALU_DEP_4) | instskip(SKIP_1) | instid1(VALU_DEP_2)
	v_add3_u32 v6, v9, v6, v2
	v_mov_b32_e32 v2, 0
                                        ; implicit-def: $vgpr9
	v_lshlrev_b64 v[0:1], 2, v[5:6]
                                        ; implicit-def: $vgpr5
	s_and_saveexec_b32 s1, vcc_lo
	s_cbranch_execz .LBB0_13
; %bb.10:
	v_mov_b32_e32 v4, 0
	s_delay_alu instid0(VALU_DEP_2) | instskip(NEXT) | instid1(VALU_DEP_1)
	v_add_co_u32 v2, s0, s8, v0
	v_add_co_ci_u32_e64 v7, s0, s9, v1, s0
	s_delay_alu instid0(VALU_DEP_3) | instskip(SKIP_2) | instid1(VALU_DEP_2)
	v_lshlrev_b64 v[5:6], 2, v[3:4]
	v_mov_b32_e32 v10, v4
	s_mov_b32 s2, exec_lo
                                        ; implicit-def: $vgpr17
                                        ; implicit-def: $vgpr15
	v_add_co_u32 v5, s0, v2, v5
	s_delay_alu instid0(VALU_DEP_1) | instskip(NEXT) | instid1(VALU_DEP_2)
	v_add_co_ci_u32_e64 v6, s0, v7, v6, s0
	v_add_co_u32 v7, s0, 0x1000, v5
	s_delay_alu instid0(VALU_DEP_1)
	v_add_co_ci_u32_e64 v8, s0, 0, v6, s0
	s_clause 0x5
	global_load_b32 v9, v[5:6], off
	global_load_b32 v12, v[5:6], off offset:840
	global_load_b32 v11, v[5:6], off offset:3780
	;; [unrolled: 1-line block ×5, first 2 shown]
	v_cmpx_gt_u32_e32 0x69, v3
	s_cbranch_execz .LBB0_12
; %bb.11:
	s_clause 0x1
	global_load_b32 v4, v[5:6], off offset:2520
	global_load_b32 v17, v[7:8], off offset:1364
	s_waitcnt vmcnt(1)
	v_lshrrev_b32_e32 v10, 16, v4
	s_waitcnt vmcnt(0)
	v_lshrrev_b32_e32 v15, 16, v17
.LBB0_12:
	s_or_b32 exec_lo, exec_lo, s2
	s_waitcnt vmcnt(5)
	v_lshrrev_b32_e32 v5, 16, v9
	s_waitcnt vmcnt(1)
	v_lshrrev_b32_e32 v20, 16, v14
	v_lshrrev_b32_e32 v8, 16, v12
	;; [unrolled: 1-line block ×3, first 2 shown]
	s_waitcnt vmcnt(0)
	v_lshrrev_b32_e32 v21, 16, v13
	v_lshrrev_b32_e32 v23, 16, v16
	v_mov_b32_e32 v2, v3
.LBB0_13:
	s_or_b32 exec_lo, exec_lo, s1
	v_sub_f16_e32 v6, v9, v14
	v_sub_f16_e32 v14, v12, v11
	;; [unrolled: 1-line block ×4, first 2 shown]
	v_lshl_add_u32 v24, v3, 2, 0
	v_fma_f16 v17, v9, 2.0, -v6
	v_add_nc_u32_e32 v9, 0xd2, v3
	v_fma_f16 v18, v13, 2.0, -v16
	v_add_nc_u32_e32 v13, 0x1a4, v3
	v_fma_f16 v12, v12, 2.0, -v14
	v_pack_b32_f16 v6, v17, v6
	v_add_nc_u32_e32 v17, 0x276, v3
	v_fma_f16 v7, v4, 2.0, -v11
	v_lshlrev_b32_e32 v4, 1, v3
	v_lshl_add_u32 v25, v9, 2, 0
	v_lshl_add_u32 v27, v13, 2, 0
	v_cmp_gt_u32_e64 s0, 0x69, v3
	v_lshl_add_u32 v26, v17, 2, 0
	v_pack_b32_f16 v12, v12, v14
	v_pack_b32_f16 v14, v18, v16
	ds_store_b32 v24, v6
	ds_store_b32 v25, v12
	;; [unrolled: 1-line block ×3, first 2 shown]
	s_and_saveexec_b32 s1, s0
	s_cbranch_execz .LBB0_15
; %bb.14:
	v_perm_b32 v6, v11, v7, 0x5040100
	ds_store_b32 v26, v6
.LBB0_15:
	s_or_b32 exec_lo, exec_lo, s1
	v_sub_nc_u32_e32 v6, v24, v4
	s_waitcnt lgkmcnt(0)
	s_barrier
	buffer_gl0_inv
	v_sub_nc_u32_e32 v4, 0, v4
	ds_load_u16 v12, v6
	ds_load_u16 v14, v6 offset:2380
	ds_load_u16 v17, v6 offset:1960
	;; [unrolled: 1-line block ×5, first 2 shown]
	v_cmp_gt_u32_e64 s1, 0x46, v3
                                        ; implicit-def: $vgpr19
	v_add_nc_u32_e32 v4, v24, v4
	s_delay_alu instid0(VALU_DEP_2)
	s_and_saveexec_b32 s2, s1
	s_cbranch_execz .LBB0_17
; %bb.16:
	ds_load_u16 v7, v4 offset:840
	ds_load_u16 v11, v4 offset:1820
	;; [unrolled: 1-line block ×3, first 2 shown]
.LBB0_17:
	s_or_b32 exec_lo, exec_lo, s2
	v_sub_f16_e32 v28, v5, v20
	v_sub_f16_e32 v22, v8, v22
	;; [unrolled: 1-line block ×4, first 2 shown]
	s_waitcnt lgkmcnt(0)
	v_fma_f16 v5, v5, 2.0, -v28
	v_fma_f16 v8, v8, 2.0, -v22
	;; [unrolled: 1-line block ×3, first 2 shown]
	s_barrier
	buffer_gl0_inv
	v_pack_b32_f16 v5, v5, v28
	v_pack_b32_f16 v21, v8, v22
	v_fma_f16 v8, v10, 2.0, -v20
	v_pack_b32_f16 v15, v15, v23
	ds_store_b32 v24, v5
	ds_store_b32 v25, v21
	;; [unrolled: 1-line block ×3, first 2 shown]
	s_and_saveexec_b32 s2, s0
	s_cbranch_execz .LBB0_19
; %bb.18:
	v_perm_b32 v5, v20, v8, 0x5040100
	ds_store_b32 v26, v5
.LBB0_19:
	s_or_b32 exec_lo, exec_lo, s2
	s_waitcnt lgkmcnt(0)
	s_barrier
	buffer_gl0_inv
	ds_load_u16 v10, v4
	ds_load_u16 v21, v4 offset:2380
	ds_load_u16 v26, v4 offset:1960
	;; [unrolled: 1-line block ×5, first 2 shown]
                                        ; implicit-def: $vgpr27
	s_and_saveexec_b32 s0, s1
	s_cbranch_execz .LBB0_21
; %bb.20:
	ds_load_u16 v8, v4 offset:840
	ds_load_u16 v20, v4 offset:1820
	ds_load_u16 v27, v4 offset:2800
.LBB0_21:
	s_or_b32 exec_lo, exec_lo, s0
	v_and_b32_e32 v15, 1, v3
	v_lshrrev_b32_e32 v23, 1, v9
	s_delay_alu instid0(VALU_DEP_2) | instskip(NEXT) | instid1(VALU_DEP_2)
	v_lshlrev_b32_e32 v22, 3, v15
	v_mul_u32_u24_e32 v23, 6, v23
	global_load_b64 v[36:37], v22, s[4:5]
	v_lshrrev_b32_e32 v22, 1, v3
	v_or_b32_e32 v23, v23, v15
	s_waitcnt vmcnt(0) lgkmcnt(0)
	s_barrier
	buffer_gl0_inv
	v_mul_u32_u24_e32 v24, 6, v22
	v_lshrrev_b32_e32 v22, 1, v13
	v_lshl_add_u32 v23, v23, 1, 0
	s_delay_alu instid0(VALU_DEP_3) | instskip(NEXT) | instid1(VALU_DEP_1)
	v_or_b32_e32 v13, v24, v15
	v_lshl_add_u32 v24, v13, 1, 0
	v_lshrrev_b32_e32 v32, 16, v36
	v_lshrrev_b32_e32 v35, 16, v37
	s_delay_alu instid0(VALU_DEP_2) | instskip(SKIP_1) | instid1(VALU_DEP_3)
	v_mul_f16_e32 v33, v30, v32
	v_mul_f16_e32 v13, v18, v32
	;; [unrolled: 1-line block ×12, first 2 shown]
	v_fmac_f16_e32 v33, v18, v36
	v_fmac_f16_e32 v34, v17, v37
	;; [unrolled: 1-line block ×6, first 2 shown]
	v_fma_f16 v35, v30, v36, -v13
	v_fma_f16 v26, v26, v37, -v38
	;; [unrolled: 1-line block ×6, first 2 shown]
	v_add_f16_e32 v14, v33, v34
	v_add_f16_e32 v18, v28, v31
	v_add_f16_e32 v27, v29, v32
	v_add_f16_e32 v13, v12, v33
	v_sub_f16_e32 v16, v35, v26
	v_add_f16_e32 v17, v6, v28
	v_sub_f16_e32 v19, v30, v21
	v_add_f16_e32 v20, v7, v29
	v_sub_f16_e32 v36, v25, v11
	v_fmac_f16_e32 v12, -0.5, v14
	v_fmac_f16_e32 v6, -0.5, v18
	;; [unrolled: 1-line block ×3, first 2 shown]
	v_add_f16_e32 v37, v13, v34
	v_add_f16_e32 v13, v20, v32
	v_fmamk_f16 v18, v16, 0xbaee, v12
	v_fmac_f16_e32 v12, 0x3aee, v16
	v_fmamk_f16 v16, v19, 0xbaee, v6
	v_fmac_f16_e32 v6, 0x3aee, v19
	;; [unrolled: 2-line block ×3, first 2 shown]
	v_add_f16_e32 v17, v17, v31
	ds_store_b16 v24, v37
	ds_store_b16 v24, v18 offset:4
	ds_store_b16 v24, v12 offset:8
	ds_store_b16 v23, v17
	ds_store_b16 v23, v16 offset:4
	ds_store_b16 v23, v6 offset:8
	s_and_saveexec_b32 s0, s1
	s_cbranch_execz .LBB0_23
; %bb.22:
	v_mul_u32_u24_e32 v12, 6, v22
	s_delay_alu instid0(VALU_DEP_1) | instskip(NEXT) | instid1(VALU_DEP_1)
	v_or_b32_e32 v12, v12, v15
	v_lshl_add_u32 v12, v12, 1, 0
	ds_store_b16 v12, v13
	ds_store_b16 v12, v14 offset:4
	ds_store_b16 v12, v7 offset:8
.LBB0_23:
	s_or_b32 exec_lo, exec_lo, s0
	s_waitcnt lgkmcnt(0)
	s_barrier
	buffer_gl0_inv
	ds_load_u16 v12, v4
	ds_load_u16 v20, v4 offset:588
	ds_load_u16 v18, v4 offset:1176
	;; [unrolled: 1-line block ×4, first 2 shown]
	v_cmp_gt_u32_e64 s0, 0x54, v3
                                        ; implicit-def: $vgpr19
	s_delay_alu instid0(VALU_DEP_1)
	s_and_saveexec_b32 s2, s0
	s_cbranch_execz .LBB0_25
; %bb.24:
	ds_load_u16 v6, v4 offset:420
	ds_load_u16 v13, v4 offset:1008
	;; [unrolled: 1-line block ×5, first 2 shown]
.LBB0_25:
	s_or_b32 exec_lo, exec_lo, s2
	v_add_f16_e32 v27, v35, v26
	v_add_f16_e32 v35, v10, v35
	v_sub_f16_e32 v33, v33, v34
	v_add_f16_e32 v34, v30, v21
	v_sub_f16_e32 v28, v28, v31
	v_fmac_f16_e32 v10, -0.5, v27
	v_add_f16_e32 v27, v5, v30
	v_add_f16_e32 v30, v25, v11
	v_fmac_f16_e32 v5, -0.5, v34
	v_add_f16_e32 v25, v8, v25
	v_sub_f16_e32 v29, v29, v32
	v_add_f16_e32 v26, v35, v26
	v_fmac_f16_e32 v8, -0.5, v30
	v_add_f16_e32 v30, v27, v21
	v_fmamk_f16 v31, v28, 0x3aee, v5
	v_fmac_f16_e32 v5, 0xbaee, v28
	v_add_f16_e32 v27, v25, v11
	v_fmamk_f16 v21, v29, 0x3aee, v8
	v_fmac_f16_e32 v8, 0xbaee, v29
	v_fmamk_f16 v34, v33, 0x3aee, v10
	v_fmac_f16_e32 v10, 0xbaee, v33
	s_waitcnt lgkmcnt(0)
	s_barrier
	buffer_gl0_inv
	ds_store_b16 v24, v26
	ds_store_b16 v24, v34 offset:4
	ds_store_b16 v24, v10 offset:8
	ds_store_b16 v23, v30
	ds_store_b16 v23, v31 offset:4
	ds_store_b16 v23, v5 offset:8
	s_and_saveexec_b32 s2, s1
	s_cbranch_execz .LBB0_27
; %bb.26:
	v_mul_u32_u24_e32 v10, 6, v22
	s_delay_alu instid0(VALU_DEP_1) | instskip(NEXT) | instid1(VALU_DEP_1)
	v_or_b32_e32 v10, v10, v15
	v_lshl_add_u32 v10, v10, 1, 0
	ds_store_b16 v10, v27
	ds_store_b16 v10, v21 offset:4
	ds_store_b16 v10, v8 offset:8
.LBB0_27:
	s_or_b32 exec_lo, exec_lo, s2
	s_waitcnt lgkmcnt(0)
	s_barrier
	buffer_gl0_inv
	ds_load_u16 v11, v4
	ds_load_u16 v32, v4 offset:588
	ds_load_u16 v31, v4 offset:1176
	;; [unrolled: 1-line block ×4, first 2 shown]
                                        ; implicit-def: $vgpr29
	s_and_saveexec_b32 s1, s0
	s_cbranch_execz .LBB0_29
; %bb.28:
	ds_load_u16 v5, v4 offset:420
	ds_load_u16 v27, v4 offset:1008
	;; [unrolled: 1-line block ×5, first 2 shown]
.LBB0_29:
	s_or_b32 exec_lo, exec_lo, s1
	v_and_b32_e32 v10, 0xff, v3
	v_and_b32_e32 v15, 0xffff, v9
	s_delay_alu instid0(VALU_DEP_2) | instskip(NEXT) | instid1(VALU_DEP_2)
	v_mul_lo_u16 v22, 0xab, v10
	v_mul_u32_u24_e32 v15, 0xaaab, v15
	s_delay_alu instid0(VALU_DEP_2) | instskip(NEXT) | instid1(VALU_DEP_2)
	v_lshrrev_b16 v22, 10, v22
	v_lshrrev_b32_e32 v15, 18, v15
	s_delay_alu instid0(VALU_DEP_2) | instskip(NEXT) | instid1(VALU_DEP_2)
	v_mul_lo_u16 v23, v22, 6
	v_mul_lo_u16 v24, v15, 6
	v_and_b32_e32 v22, 0xffff, v22
	v_mul_lo_u16 v15, v15, 30
	s_delay_alu instid0(VALU_DEP_4) | instskip(NEXT) | instid1(VALU_DEP_4)
	v_sub_nc_u16 v23, v3, v23
	v_sub_nc_u16 v9, v9, v24
	s_delay_alu instid0(VALU_DEP_4) | instskip(NEXT) | instid1(VALU_DEP_3)
	v_mul_u32_u24_e32 v22, 60, v22
	v_and_b32_e32 v23, 0xff, v23
	s_delay_alu instid0(VALU_DEP_3) | instskip(NEXT) | instid1(VALU_DEP_2)
	v_and_b32_e32 v9, 0xffff, v9
	v_lshlrev_b32_e32 v24, 4, v23
	s_delay_alu instid0(VALU_DEP_2)
	v_lshlrev_b32_e32 v25, 4, v9
	v_lshlrev_b32_e32 v23, 1, v23
	;; [unrolled: 1-line block ×3, first 2 shown]
	s_clause 0x1
	global_load_b128 v[37:40], v24, s[4:5] offset:16
	global_load_b128 v[41:44], v25, s[4:5] offset:16
	s_waitcnt vmcnt(0) lgkmcnt(0)
	v_add3_u32 v22, 0, v22, v23
	s_barrier
	buffer_gl0_inv
	v_lshrrev_b32_e32 v24, 16, v38
	v_lshrrev_b32_e32 v25, 16, v39
	;; [unrolled: 1-line block ×6, first 2 shown]
	v_mul_f16_e32 v34, v31, v24
	v_mul_f16_e32 v35, v30, v25
	v_lshrrev_b32_e32 v45, 16, v41
	v_mul_f16_e32 v33, v32, v23
	v_mul_f16_e32 v36, v28, v26
	v_lshrrev_b32_e32 v48, 16, v44
	v_mul_f16_e32 v49, v20, v23
	v_mul_f16_e32 v50, v18, v24
	;; [unrolled: 1-line block ×8, first 2 shown]
	v_fmac_f16_e32 v34, v18, v38
	v_fmac_f16_e32 v35, v17, v39
	v_mul_f16_e32 v23, v27, v45
	v_mul_f16_e32 v45, v13, v45
	v_fmac_f16_e32 v33, v20, v37
	v_fmac_f16_e32 v36, v16, v40
	v_mul_f16_e32 v26, v29, v48
	v_mul_f16_e32 v48, v19, v48
	v_fma_f16 v32, v32, v37, -v49
	v_fma_f16 v28, v28, v40, -v52
	;; [unrolled: 1-line block ×4, first 2 shown]
	v_add_f16_e32 v8, v34, v35
	v_fma_f16 v31, v31, v38, -v50
	v_fma_f16 v17, v30, v39, -v51
	;; [unrolled: 1-line block ×3, first 2 shown]
	v_add_f16_e32 v27, v33, v36
	v_fmac_f16_e32 v25, v7, v43
	v_add_f16_e32 v7, v12, v33
	v_fmac_f16_e32 v23, v13, v41
	v_fmac_f16_e32 v26, v19, v44
	v_fma_f16 v19, v29, v44, -v48
	v_sub_f16_e32 v13, v32, v28
	v_sub_f16_e32 v16, v33, v34
	;; [unrolled: 1-line block ×3, first 2 shown]
	v_fma_f16 v8, -0.5, v8, v12
	v_fmac_f16_e32 v24, v14, v42
	v_sub_f16_e32 v14, v31, v17
	v_sub_f16_e32 v30, v34, v33
	;; [unrolled: 1-line block ×3, first 2 shown]
	v_fmac_f16_e32 v12, -0.5, v27
	v_add_f16_e32 v7, v7, v34
	v_add_f16_e32 v16, v16, v29
	v_fmamk_f16 v29, v13, 0xbb9c, v8
	v_add_f16_e32 v27, v30, v37
	v_fmamk_f16 v30, v14, 0x3b9c, v12
	v_fmac_f16_e32 v12, 0xbb9c, v14
	v_fmac_f16_e32 v8, 0x3b9c, v13
	v_add_f16_e32 v7, v7, v35
	v_fmac_f16_e32 v29, 0xb8b4, v14
	v_fmac_f16_e32 v30, 0xb8b4, v13
	;; [unrolled: 1-line block ×4, first 2 shown]
	v_add_f16_e32 v7, v7, v36
	v_fmac_f16_e32 v29, 0x34f2, v16
	v_fmac_f16_e32 v30, 0x34f2, v27
	v_fmac_f16_e32 v12, 0x34f2, v27
	v_fmac_f16_e32 v8, 0x34f2, v16
	ds_store_b16 v22, v7
	ds_store_b16 v22, v29 offset:12
	ds_store_b16 v22, v30 offset:24
	;; [unrolled: 1-line block ×4, first 2 shown]
	s_and_saveexec_b32 s1, s0
	s_cbranch_execz .LBB0_31
; %bb.30:
	v_add_f16_e32 v7, v23, v26
	v_add_f16_e32 v14, v24, v25
	v_sub_f16_e32 v8, v24, v23
	v_sub_f16_e32 v12, v25, v26
	v_add_f16_e32 v29, v6, v23
	v_fma_f16 v7, -0.5, v7, v6
	v_sub_f16_e32 v16, v18, v19
	v_fma_f16 v6, -0.5, v14, v6
	v_sub_f16_e32 v13, v20, v21
	v_sub_f16_e32 v27, v23, v24
	;; [unrolled: 1-line block ×3, first 2 shown]
	v_add_f16_e32 v8, v8, v12
	v_add_f16_e32 v12, v29, v24
	v_and_b32_e32 v37, 0xffff, v15
	v_fmamk_f16 v29, v16, 0x3b9c, v6
	v_fmac_f16_e32 v6, 0xbb9c, v16
	v_fmamk_f16 v14, v13, 0xbb9c, v7
	v_fmac_f16_e32 v7, 0x3b9c, v13
	v_add_f16_e32 v27, v27, v30
	v_add_f16_e32 v12, v12, v25
	v_lshlrev_b32_e32 v30, 1, v37
	v_fmac_f16_e32 v6, 0xb8b4, v13
	v_fmac_f16_e32 v7, 0xb8b4, v16
	;; [unrolled: 1-line block ×4, first 2 shown]
	v_add_f16_e32 v12, v12, v26
	v_add3_u32 v13, 0, v9, v30
	v_fmac_f16_e32 v6, 0x34f2, v27
	v_fmac_f16_e32 v7, 0x34f2, v8
	;; [unrolled: 1-line block ×4, first 2 shown]
	ds_store_b16 v13, v12
	ds_store_b16 v13, v6 offset:12
	ds_store_b16 v13, v7 offset:24
	ds_store_b16 v13, v14 offset:36
	ds_store_b16 v13, v29 offset:48
.LBB0_31:
	s_or_b32 exec_lo, exec_lo, s1
	v_add_f16_e32 v6, v31, v17
	v_add_f16_e32 v7, v11, v32
	v_sub_f16_e32 v27, v33, v36
	v_add_f16_e32 v8, v32, v28
	v_sub_f16_e32 v33, v32, v31
	v_fma_f16 v30, -0.5, v6, v11
	v_add_f16_e32 v6, v7, v31
	v_sub_f16_e32 v31, v31, v32
	v_sub_f16_e32 v29, v34, v35
	;; [unrolled: 1-line block ×3, first 2 shown]
	v_fmac_f16_e32 v11, -0.5, v8
	v_add_f16_e32 v32, v6, v17
	v_lshl_add_u32 v6, v3, 1, 0
	v_sub_f16_e32 v37, v17, v28
	s_waitcnt lgkmcnt(0)
	s_barrier
	buffer_gl0_inv
	ds_load_u16 v13, v6 offset:840
	ds_load_u16 v16, v4 offset:420
	;; [unrolled: 1-line block ×5, first 2 shown]
	ds_load_u16 v7, v4
	ds_load_u16 v17, v6 offset:1260
	v_fmamk_f16 v35, v27, 0x3b9c, v30
	v_fmac_f16_e32 v30, 0xbb9c, v27
	v_fmamk_f16 v36, v29, 0xbb9c, v11
	v_fmac_f16_e32 v11, 0x3b9c, v29
	v_add_f16_e32 v33, v33, v34
	v_fmac_f16_e32 v35, 0x38b4, v29
	v_fmac_f16_e32 v30, 0xb8b4, v29
	;; [unrolled: 1-line block ×3, first 2 shown]
	v_add_f16_e32 v29, v31, v37
	v_fmac_f16_e32 v11, 0xb8b4, v27
	v_add_f16_e32 v27, v32, v28
	v_fmac_f16_e32 v35, 0x34f2, v33
	v_fmac_f16_e32 v30, 0x34f2, v33
	;; [unrolled: 1-line block ×4, first 2 shown]
	s_waitcnt lgkmcnt(0)
	s_barrier
	buffer_gl0_inv
	ds_store_b16 v22, v27
	ds_store_b16 v22, v35 offset:12
	ds_store_b16 v22, v36 offset:24
	;; [unrolled: 1-line block ×4, first 2 shown]
	s_and_saveexec_b32 s1, s0
	s_cbranch_execz .LBB0_33
; %bb.32:
	v_add_f16_e32 v11, v5, v18
	v_add_f16_e32 v22, v20, v21
	v_sub_f16_e32 v24, v24, v25
	v_add_f16_e32 v25, v18, v19
	v_sub_f16_e32 v23, v23, v26
	v_add_f16_e32 v11, v11, v20
	v_fma_f16 v22, -0.5, v22, v5
	v_sub_f16_e32 v26, v18, v20
	v_sub_f16_e32 v27, v19, v21
	v_fmac_f16_e32 v5, -0.5, v25
	v_add_f16_e32 v11, v11, v21
	v_and_b32_e32 v15, 0xffff, v15
	v_fmamk_f16 v25, v23, 0x3b9c, v22
	v_add_f16_e32 v26, v26, v27
	v_fmamk_f16 v27, v24, 0xbb9c, v5
	v_add_f16_e32 v11, v11, v19
	v_sub_f16_e32 v18, v20, v18
	v_sub_f16_e32 v19, v21, v19
	v_fmac_f16_e32 v5, 0x3b9c, v24
	v_fmac_f16_e32 v22, 0xbb9c, v23
	v_lshlrev_b32_e32 v15, 1, v15
	v_fmac_f16_e32 v25, 0x38b4, v24
	v_fmac_f16_e32 v27, 0x38b4, v23
	v_add_f16_e32 v18, v18, v19
	v_fmac_f16_e32 v5, 0xb8b4, v23
	v_fmac_f16_e32 v22, 0xb8b4, v24
	v_add3_u32 v9, 0, v9, v15
	v_fmac_f16_e32 v25, 0x34f2, v26
	v_fmac_f16_e32 v27, 0x34f2, v18
	;; [unrolled: 1-line block ×4, first 2 shown]
	ds_store_b16 v9, v11
	ds_store_b16 v9, v25 offset:12
	ds_store_b16 v9, v27 offset:24
	;; [unrolled: 1-line block ×4, first 2 shown]
.LBB0_33:
	s_or_b32 exec_lo, exec_lo, s1
	v_mul_lo_u16 v5, 0x89, v10
	s_waitcnt lgkmcnt(0)
	s_barrier
	buffer_gl0_inv
	v_lshrrev_b16 v5, 12, v5
	s_delay_alu instid0(VALU_DEP_1) | instskip(SKIP_1) | instid1(VALU_DEP_2)
	v_mul_lo_u16 v9, v5, 30
	v_and_b32_e32 v5, 0xffff, v5
	v_sub_nc_u16 v9, v3, v9
	s_delay_alu instid0(VALU_DEP_2) | instskip(NEXT) | instid1(VALU_DEP_2)
	v_mul_u32_u24_e32 v5, 0x1a4, v5
	v_and_b32_e32 v11, 0xff, v9
	s_delay_alu instid0(VALU_DEP_1) | instskip(SKIP_1) | instid1(VALU_DEP_2)
	v_mul_u32_u24_e32 v9, 6, v11
	v_lshlrev_b32_e32 v11, 1, v11
	v_lshlrev_b32_e32 v9, 2, v9
	s_delay_alu instid0(VALU_DEP_2)
	v_add3_u32 v28, 0, v5, v11
	s_clause 0x1
	global_load_b128 v[18:21], v9, s[4:5] offset:112
	global_load_b64 v[9:10], v9, s[4:5] offset:128
	ds_load_u16 v15, v4 offset:420
	ds_load_u16 v22, v6 offset:840
	;; [unrolled: 1-line block ×4, first 2 shown]
	ds_load_u16 v25, v4
	ds_load_u16 v26, v4 offset:2100
	ds_load_u16 v27, v4 offset:2520
	s_waitcnt vmcnt(0) lgkmcnt(0)
	s_barrier
	buffer_gl0_inv
	v_lshrrev_b32_e32 v5, 16, v18
	v_lshrrev_b32_e32 v11, 16, v19
	;; [unrolled: 1-line block ×6, first 2 shown]
	v_mul_f16_e32 v33, v15, v5
	v_mul_f16_e32 v5, v16, v5
	;; [unrolled: 1-line block ×12, first 2 shown]
	v_fmac_f16_e32 v33, v16, v18
	v_fma_f16 v5, v15, v18, -v5
	v_fmac_f16_e32 v34, v13, v19
	v_fmac_f16_e32 v38, v14, v10
	v_fma_f16 v10, v27, v10, -v32
	v_fmac_f16_e32 v37, v8, v9
	v_fma_f16 v11, v22, v19, -v11
	;; [unrolled: 2-line block ×4, first 2 shown]
	v_fma_f16 v8, v26, v9, -v31
	v_add_f16_e32 v9, v33, v38
	v_add_f16_e32 v14, v5, v10
	v_sub_f16_e32 v5, v5, v10
	v_add_f16_e32 v10, v34, v37
	v_add_f16_e32 v16, v11, v8
	v_sub_f16_e32 v8, v11, v8
	v_add_f16_e32 v11, v35, v36
	v_add_f16_e32 v18, v13, v12
	v_sub_f16_e32 v12, v12, v13
	v_add_f16_e32 v13, v10, v9
	v_add_f16_e32 v20, v16, v14
	v_sub_f16_e32 v21, v10, v9
	v_sub_f16_e32 v22, v16, v14
	v_sub_f16_e32 v9, v9, v11
	;; [unrolled: 1-line block ×5, first 2 shown]
	v_add_f16_e32 v24, v12, v8
	v_sub_f16_e32 v27, v12, v8
	v_sub_f16_e32 v8, v8, v5
	v_add_f16_e32 v11, v11, v13
	v_sub_f16_e32 v15, v33, v38
	v_sub_f16_e32 v17, v34, v37
	;; [unrolled: 1-line block ×4, first 2 shown]
	v_add_f16_e32 v13, v18, v20
	v_add_f16_e32 v5, v24, v5
	v_mul_f16_e32 v9, 0x3a52, v9
	v_mul_f16_e32 v14, 0x3a52, v14
	;; [unrolled: 1-line block ×5, first 2 shown]
	v_add_f16_e32 v7, v7, v11
	v_add_f16_e32 v23, v19, v17
	v_sub_f16_e32 v26, v19, v17
	v_sub_f16_e32 v17, v17, v15
	v_mul_f16_e32 v18, 0x2b26, v10
	v_fmamk_f16 v10, v10, 0x2b26, v9
	v_fmamk_f16 v16, v16, 0x2b26, v14
	v_fma_f16 v20, v22, 0x39e0, -v20
	v_fma_f16 v14, v22, 0xb9e0, -v14
	v_fmamk_f16 v22, v12, 0xb574, v24
	v_fma_f16 v8, v8, 0xbb00, -v24
	v_fma_f16 v12, v12, 0x3574, -v27
	v_fmamk_f16 v11, v11, 0xbcab, v7
	v_sub_f16_e32 v19, v15, v19
	v_add_f16_e32 v15, v23, v15
	v_mul_f16_e32 v23, 0x3846, v26
	v_mul_f16_e32 v26, 0xbb00, v17
	v_add_f16_e32 v25, v25, v13
	v_fma_f16 v9, v21, 0xb9e0, -v9
	v_fma_f16 v18, v21, 0x39e0, -v18
	v_fmac_f16_e32 v22, 0xb70e, v5
	v_fmac_f16_e32 v8, 0xb70e, v5
	;; [unrolled: 1-line block ×3, first 2 shown]
	v_add_f16_e32 v5, v10, v11
	v_fmamk_f16 v21, v19, 0xb574, v23
	v_fma_f16 v17, v17, 0xbb00, -v23
	v_fma_f16 v19, v19, 0x3574, -v26
	v_fmamk_f16 v13, v13, 0xbcab, v25
	v_add_f16_e32 v9, v9, v11
	v_add_f16_e32 v10, v18, v11
	;; [unrolled: 1-line block ×3, first 2 shown]
	v_fmac_f16_e32 v21, 0xb70e, v15
	v_fmac_f16_e32 v17, 0xb70e, v15
	;; [unrolled: 1-line block ×3, first 2 shown]
	v_add_f16_e32 v15, v16, v13
	v_add_f16_e32 v16, v20, v13
	;; [unrolled: 1-line block ×4, first 2 shown]
	v_sub_f16_e32 v18, v10, v8
	v_add_f16_e32 v8, v8, v10
	v_sub_f16_e32 v9, v9, v12
	v_sub_f16_e32 v5, v5, v22
	ds_store_b16 v28, v7
	ds_store_b16 v28, v11 offset:60
	ds_store_b16 v28, v14 offset:120
	;; [unrolled: 1-line block ×6, first 2 shown]
	s_waitcnt lgkmcnt(0)
	s_barrier
	buffer_gl0_inv
	ds_load_u16 v7, v6 offset:840
	ds_load_u16 v8, v4 offset:420
	;; [unrolled: 1-line block ×5, first 2 shown]
	ds_load_u16 v5, v4
	ds_load_u16 v11, v6 offset:1260
	v_sub_f16_e32 v14, v15, v21
	v_sub_f16_e32 v18, v13, v19
	v_add_f16_e32 v20, v17, v16
	v_sub_f16_e32 v16, v16, v17
	v_add_f16_e32 v13, v19, v13
	v_add_f16_e32 v15, v21, v15
	s_waitcnt lgkmcnt(0)
	s_barrier
	buffer_gl0_inv
	ds_store_b16 v28, v25
	ds_store_b16 v28, v14 offset:60
	ds_store_b16 v28, v18 offset:120
	;; [unrolled: 1-line block ×6, first 2 shown]
	s_waitcnt lgkmcnt(0)
	s_barrier
	buffer_gl0_inv
	s_and_saveexec_b32 s0, vcc_lo
	s_cbranch_execz .LBB0_35
; %bb.34:
	v_mul_u32_u24_e32 v3, 6, v3
	v_add_co_u32 v0, vcc_lo, s8, v0
	v_add_co_ci_u32_e32 v1, vcc_lo, s9, v1, vcc_lo
	s_delay_alu instid0(VALU_DEP_3)
	v_lshlrev_b32_e32 v3, 2, v3
	s_clause 0x1
	global_load_b128 v[13:16], v3, s[4:5] offset:832
	global_load_b64 v[17:18], v3, s[4:5] offset:848
	ds_load_u16 v19, v4 offset:420
	ds_load_u16 v20, v4 offset:1680
	;; [unrolled: 1-line block ×6, first 2 shown]
	ds_load_u16 v4, v4
	v_mov_b32_e32 v3, 0
	s_delay_alu instid0(VALU_DEP_1) | instskip(NEXT) | instid1(VALU_DEP_1)
	v_lshlrev_b64 v[2:3], 2, v[2:3]
	v_add_co_u32 v0, vcc_lo, v0, v2
	s_delay_alu instid0(VALU_DEP_2) | instskip(NEXT) | instid1(VALU_DEP_2)
	v_add_co_ci_u32_e32 v1, vcc_lo, v1, v3, vcc_lo
	v_add_co_u32 v2, vcc_lo, 0x1000, v0
	s_delay_alu instid0(VALU_DEP_2)
	v_add_co_ci_u32_e32 v3, vcc_lo, 0, v1, vcc_lo
	s_waitcnt vmcnt(1)
	v_lshrrev_b32_e32 v24, 16, v13
	v_lshrrev_b32_e32 v25, 16, v14
	;; [unrolled: 1-line block ×4, first 2 shown]
	s_waitcnt vmcnt(0)
	v_lshrrev_b32_e32 v29, 16, v17
	v_lshrrev_b32_e32 v30, 16, v18
	v_mul_f16_e32 v32, v9, v16
	v_mul_f16_e32 v33, v11, v15
	;; [unrolled: 1-line block ×6, first 2 shown]
	s_waitcnt lgkmcnt(5)
	v_fmac_f16_e32 v32, v20, v27
	s_waitcnt lgkmcnt(4)
	v_fmac_f16_e32 v33, v21, v26
	;; [unrolled: 2-line block ×4, first 2 shown]
	v_mul_f16_e32 v12, v12, v30
	v_mul_f16_e32 v8, v8, v24
	v_mul_f16_e32 v10, v10, v29
	v_mul_f16_e32 v7, v7, v25
	v_fmac_f16_e32 v28, v19, v24
	v_fmac_f16_e32 v31, v22, v30
	v_mul_f16_e32 v11, v11, v26
	v_mul_f16_e32 v9, v9, v27
	v_sub_f16_e32 v25, v32, v33
	v_sub_f16_e32 v26, v34, v35
	v_fma_f16 v12, v22, v18, -v12
	v_fma_f16 v8, v19, v13, -v8
	;; [unrolled: 1-line block ×4, first 2 shown]
	v_sub_f16_e32 v24, v28, v31
	v_fma_f16 v11, v21, v15, -v11
	v_fma_f16 v9, v20, v16, -v9
	v_add_f16_e32 v7, v28, v31
	v_add_f16_e32 v13, v32, v33
	;; [unrolled: 1-line block ×6, first 2 shown]
	v_sub_f16_e32 v16, v25, v26
	v_add_f16_e32 v19, v9, v11
	v_sub_f16_e32 v21, v7, v13
	v_sub_f16_e32 v22, v13, v14
	v_add_f16_e32 v23, v7, v14
	v_sub_f16_e32 v8, v8, v12
	v_sub_f16_e32 v9, v9, v11
	;; [unrolled: 1-line block ×4, first 2 shown]
	v_add_f16_e32 v12, v24, v17
	v_add_f16_e32 v17, v18, v20
	v_sub_f16_e32 v15, v24, v25
	v_sub_f16_e32 v7, v14, v7
	v_mul_f16_e32 v11, 0x3846, v16
	v_sub_f16_e32 v16, v19, v20
	v_mul_f16_e32 v24, 0x3a52, v21
	v_mul_f16_e32 v22, 0x2b26, v22
	v_add_f16_e32 v13, v13, v23
	v_sub_f16_e32 v23, v8, v9
	v_sub_f16_e32 v25, v9, v6
	v_add_f16_e32 v9, v9, v6
	v_mul_f16_e32 v26, 0xbb00, v10
	v_sub_f16_e32 v6, v6, v8
	v_add_f16_e32 v17, v19, v17
	v_sub_f16_e32 v14, v18, v19
	v_sub_f16_e32 v18, v20, v18
	v_fmamk_f16 v20, v15, 0xb574, v11
	v_mul_f16_e32 v16, 0x2b26, v16
	v_fmamk_f16 v19, v21, 0x3a52, v22
	v_add_f16_e32 v5, v5, v13
	v_mul_f16_e32 v21, 0x3846, v25
	v_add_f16_e32 v8, v8, v9
	v_fma_f16 v9, v15, 0x3574, -v26
	v_fma_f16 v15, v7, 0xb9e0, -v24
	v_mul_f16_e32 v24, 0xbb00, v6
	v_fma_f16 v10, v10, 0xbb00, -v11
	s_waitcnt lgkmcnt(0)
	v_add_f16_e32 v4, v4, v17
	v_mul_f16_e32 v27, 0x3a52, v14
	v_fma_f16 v7, v7, 0x39e0, -v22
	v_fmac_f16_e32 v20, 0xb70e, v12
	v_fmamk_f16 v11, v14, 0x3a52, v16
	v_fmamk_f16 v13, v13, 0xbcab, v5
	;; [unrolled: 1-line block ×3, first 2 shown]
	v_fmac_f16_e32 v9, 0xb70e, v12
	v_fma_f16 v23, v23, 0x3574, -v24
	v_fmac_f16_e32 v10, 0xb70e, v12
	v_fma_f16 v6, v6, 0xbb00, -v21
	v_fmamk_f16 v12, v17, 0xbcab, v4
	v_fma_f16 v22, v18, 0xb9e0, -v27
	v_fma_f16 v16, v18, 0x39e0, -v16
	v_add_f16_e32 v17, v19, v13
	v_fmac_f16_e32 v14, 0xb70e, v8
	v_add_f16_e32 v15, v15, v13
	v_fmac_f16_e32 v23, 0xb70e, v8
	v_fmac_f16_e32 v6, 0xb70e, v8
	v_add_f16_e32 v7, v7, v13
	v_pack_b32_f16 v4, v5, v4
	v_add_f16_e32 v5, v11, v12
	v_add_f16_e32 v11, v22, v12
	;; [unrolled: 1-line block ×3, first 2 shown]
	v_sub_f16_e32 v8, v17, v14
	v_sub_f16_e32 v13, v15, v23
	v_add_f16_e32 v16, v6, v7
	v_sub_f16_e32 v6, v7, v6
	v_add_f16_e32 v7, v23, v15
	v_add_f16_e32 v14, v14, v17
	;; [unrolled: 1-line block ×3, first 2 shown]
	v_sub_f16_e32 v5, v5, v20
	v_sub_f16_e32 v17, v11, v9
	v_add_f16_e32 v18, v10, v12
	v_sub_f16_e32 v10, v12, v10
	v_add_f16_e32 v9, v9, v11
	v_pack_b32_f16 v5, v14, v5
	v_pack_b32_f16 v7, v7, v17
	;; [unrolled: 1-line block ×6, first 2 shown]
	s_clause 0x6
	global_store_b32 v[0:1], v4, off
	global_store_b32 v[0:1], v5, off offset:840
	global_store_b32 v[0:1], v7, off offset:1680
	;; [unrolled: 1-line block ×6, first 2 shown]
.LBB0_35:
	s_nop 0
	s_sendmsg sendmsg(MSG_DEALLOC_VGPRS)
	s_endpgm
	.section	.rodata,"a",@progbits
	.p2align	6, 0x0
	.amdhsa_kernel fft_rtc_back_len1470_factors_2_3_5_7_7_wgs_210_tpt_210_halfLds_half_ip_CI_unitstride_sbrr_dirReg
		.amdhsa_group_segment_fixed_size 0
		.amdhsa_private_segment_fixed_size 0
		.amdhsa_kernarg_size 88
		.amdhsa_user_sgpr_count 15
		.amdhsa_user_sgpr_dispatch_ptr 0
		.amdhsa_user_sgpr_queue_ptr 0
		.amdhsa_user_sgpr_kernarg_segment_ptr 1
		.amdhsa_user_sgpr_dispatch_id 0
		.amdhsa_user_sgpr_private_segment_size 0
		.amdhsa_wavefront_size32 1
		.amdhsa_uses_dynamic_stack 0
		.amdhsa_enable_private_segment 0
		.amdhsa_system_sgpr_workgroup_id_x 1
		.amdhsa_system_sgpr_workgroup_id_y 0
		.amdhsa_system_sgpr_workgroup_id_z 0
		.amdhsa_system_sgpr_workgroup_info 0
		.amdhsa_system_vgpr_workitem_id 0
		.amdhsa_next_free_vgpr 53
		.amdhsa_next_free_sgpr 21
		.amdhsa_reserve_vcc 1
		.amdhsa_float_round_mode_32 0
		.amdhsa_float_round_mode_16_64 0
		.amdhsa_float_denorm_mode_32 3
		.amdhsa_float_denorm_mode_16_64 3
		.amdhsa_dx10_clamp 1
		.amdhsa_ieee_mode 1
		.amdhsa_fp16_overflow 0
		.amdhsa_workgroup_processor_mode 1
		.amdhsa_memory_ordered 1
		.amdhsa_forward_progress 0
		.amdhsa_shared_vgpr_count 0
		.amdhsa_exception_fp_ieee_invalid_op 0
		.amdhsa_exception_fp_denorm_src 0
		.amdhsa_exception_fp_ieee_div_zero 0
		.amdhsa_exception_fp_ieee_overflow 0
		.amdhsa_exception_fp_ieee_underflow 0
		.amdhsa_exception_fp_ieee_inexact 0
		.amdhsa_exception_int_div_zero 0
	.end_amdhsa_kernel
	.text
.Lfunc_end0:
	.size	fft_rtc_back_len1470_factors_2_3_5_7_7_wgs_210_tpt_210_halfLds_half_ip_CI_unitstride_sbrr_dirReg, .Lfunc_end0-fft_rtc_back_len1470_factors_2_3_5_7_7_wgs_210_tpt_210_halfLds_half_ip_CI_unitstride_sbrr_dirReg
                                        ; -- End function
	.section	.AMDGPU.csdata,"",@progbits
; Kernel info:
; codeLenInByte = 6372
; NumSgprs: 23
; NumVgprs: 53
; ScratchSize: 0
; MemoryBound: 0
; FloatMode: 240
; IeeeMode: 1
; LDSByteSize: 0 bytes/workgroup (compile time only)
; SGPRBlocks: 2
; VGPRBlocks: 6
; NumSGPRsForWavesPerEU: 23
; NumVGPRsForWavesPerEU: 53
; Occupancy: 16
; WaveLimiterHint : 1
; COMPUTE_PGM_RSRC2:SCRATCH_EN: 0
; COMPUTE_PGM_RSRC2:USER_SGPR: 15
; COMPUTE_PGM_RSRC2:TRAP_HANDLER: 0
; COMPUTE_PGM_RSRC2:TGID_X_EN: 1
; COMPUTE_PGM_RSRC2:TGID_Y_EN: 0
; COMPUTE_PGM_RSRC2:TGID_Z_EN: 0
; COMPUTE_PGM_RSRC2:TIDIG_COMP_CNT: 0
	.text
	.p2alignl 7, 3214868480
	.fill 96, 4, 3214868480
	.type	__hip_cuid_ad823672dc592099,@object ; @__hip_cuid_ad823672dc592099
	.section	.bss,"aw",@nobits
	.globl	__hip_cuid_ad823672dc592099
__hip_cuid_ad823672dc592099:
	.byte	0                               ; 0x0
	.size	__hip_cuid_ad823672dc592099, 1

	.ident	"AMD clang version 19.0.0git (https://github.com/RadeonOpenCompute/llvm-project roc-6.4.0 25133 c7fe45cf4b819c5991fe208aaa96edf142730f1d)"
	.section	".note.GNU-stack","",@progbits
	.addrsig
	.addrsig_sym __hip_cuid_ad823672dc592099
	.amdgpu_metadata
---
amdhsa.kernels:
  - .args:
      - .actual_access:  read_only
        .address_space:  global
        .offset:         0
        .size:           8
        .value_kind:     global_buffer
      - .offset:         8
        .size:           8
        .value_kind:     by_value
      - .actual_access:  read_only
        .address_space:  global
        .offset:         16
        .size:           8
        .value_kind:     global_buffer
      - .actual_access:  read_only
        .address_space:  global
        .offset:         24
        .size:           8
        .value_kind:     global_buffer
      - .offset:         32
        .size:           8
        .value_kind:     by_value
      - .actual_access:  read_only
        .address_space:  global
        .offset:         40
        .size:           8
        .value_kind:     global_buffer
      - .actual_access:  read_only
        .address_space:  global
        .offset:         48
        .size:           8
        .value_kind:     global_buffer
      - .offset:         56
        .size:           4
        .value_kind:     by_value
      - .actual_access:  read_only
        .address_space:  global
        .offset:         64
        .size:           8
        .value_kind:     global_buffer
      - .actual_access:  read_only
        .address_space:  global
        .offset:         72
        .size:           8
        .value_kind:     global_buffer
      - .address_space:  global
        .offset:         80
        .size:           8
        .value_kind:     global_buffer
    .group_segment_fixed_size: 0
    .kernarg_segment_align: 8
    .kernarg_segment_size: 88
    .language:       OpenCL C
    .language_version:
      - 2
      - 0
    .max_flat_workgroup_size: 210
    .name:           fft_rtc_back_len1470_factors_2_3_5_7_7_wgs_210_tpt_210_halfLds_half_ip_CI_unitstride_sbrr_dirReg
    .private_segment_fixed_size: 0
    .sgpr_count:     23
    .sgpr_spill_count: 0
    .symbol:         fft_rtc_back_len1470_factors_2_3_5_7_7_wgs_210_tpt_210_halfLds_half_ip_CI_unitstride_sbrr_dirReg.kd
    .uniform_work_group_size: 1
    .uses_dynamic_stack: false
    .vgpr_count:     53
    .vgpr_spill_count: 0
    .wavefront_size: 32
    .workgroup_processor_mode: 1
amdhsa.target:   amdgcn-amd-amdhsa--gfx1100
amdhsa.version:
  - 1
  - 2
...

	.end_amdgpu_metadata
